;; amdgpu-corpus repo=ROCm/rocFFT kind=compiled arch=gfx1201 opt=O3
	.text
	.amdgcn_target "amdgcn-amd-amdhsa--gfx1201"
	.amdhsa_code_object_version 6
	.protected	fft_rtc_back_len240_factors_8_5_6_wgs_96_tpt_48_halfLds_dp_ip_CI_unitstride_sbrr_R2C_dirReg ; -- Begin function fft_rtc_back_len240_factors_8_5_6_wgs_96_tpt_48_halfLds_dp_ip_CI_unitstride_sbrr_R2C_dirReg
	.globl	fft_rtc_back_len240_factors_8_5_6_wgs_96_tpt_48_halfLds_dp_ip_CI_unitstride_sbrr_R2C_dirReg
	.p2align	8
	.type	fft_rtc_back_len240_factors_8_5_6_wgs_96_tpt_48_halfLds_dp_ip_CI_unitstride_sbrr_R2C_dirReg,@function
fft_rtc_back_len240_factors_8_5_6_wgs_96_tpt_48_halfLds_dp_ip_CI_unitstride_sbrr_R2C_dirReg: ; @fft_rtc_back_len240_factors_8_5_6_wgs_96_tpt_48_halfLds_dp_ip_CI_unitstride_sbrr_R2C_dirReg
; %bb.0:
	s_clause 0x2
	s_load_b128 s[4:7], s[0:1], 0x0
	s_load_b64 s[8:9], s[0:1], 0x50
	s_load_b64 s[10:11], s[0:1], 0x18
	v_mul_u32_u24_e32 v1, 0x556, v0
	v_mov_b32_e32 v3, 0
	s_delay_alu instid0(VALU_DEP_2) | instskip(SKIP_2) | instid1(VALU_DEP_4)
	v_lshrrev_b32_e32 v9, 16, v1
	v_mov_b32_e32 v1, 0
	v_mov_b32_e32 v2, 0
	;; [unrolled: 1-line block ×3, first 2 shown]
	s_delay_alu instid0(VALU_DEP_4) | instskip(SKIP_2) | instid1(VALU_DEP_1)
	v_lshl_add_u32 v5, ttmp9, 1, v9
	s_wait_kmcnt 0x0
	v_cmp_lt_u64_e64 s2, s[6:7], 2
	s_and_b32 vcc_lo, exec_lo, s2
	s_cbranch_vccnz .LBB0_8
; %bb.1:
	s_load_b64 s[2:3], s[0:1], 0x10
	v_mov_b32_e32 v1, 0
	v_mov_b32_e32 v2, 0
	s_add_nc_u64 s[12:13], s[10:11], 8
	s_mov_b64 s[14:15], 1
	s_wait_kmcnt 0x0
	s_add_nc_u64 s[16:17], s[2:3], 8
	s_mov_b32 s3, 0
.LBB0_2:                                ; =>This Inner Loop Header: Depth=1
	s_load_b64 s[18:19], s[16:17], 0x0
                                        ; implicit-def: $vgpr7_vgpr8
	s_mov_b32 s2, exec_lo
	s_wait_kmcnt 0x0
	v_or_b32_e32 v4, s19, v6
	s_delay_alu instid0(VALU_DEP_1)
	v_cmpx_ne_u64_e32 0, v[3:4]
	s_wait_alu 0xfffe
	s_xor_b32 s20, exec_lo, s2
	s_cbranch_execz .LBB0_4
; %bb.3:                                ;   in Loop: Header=BB0_2 Depth=1
	s_cvt_f32_u32 s2, s18
	s_cvt_f32_u32 s21, s19
	s_sub_nc_u64 s[24:25], 0, s[18:19]
	s_wait_alu 0xfffe
	s_delay_alu instid0(SALU_CYCLE_1) | instskip(SKIP_1) | instid1(SALU_CYCLE_2)
	s_fmamk_f32 s2, s21, 0x4f800000, s2
	s_wait_alu 0xfffe
	v_s_rcp_f32 s2, s2
	s_delay_alu instid0(TRANS32_DEP_1) | instskip(SKIP_1) | instid1(SALU_CYCLE_2)
	s_mul_f32 s2, s2, 0x5f7ffffc
	s_wait_alu 0xfffe
	s_mul_f32 s21, s2, 0x2f800000
	s_wait_alu 0xfffe
	s_delay_alu instid0(SALU_CYCLE_2) | instskip(SKIP_1) | instid1(SALU_CYCLE_2)
	s_trunc_f32 s21, s21
	s_wait_alu 0xfffe
	s_fmamk_f32 s2, s21, 0xcf800000, s2
	s_cvt_u32_f32 s23, s21
	s_wait_alu 0xfffe
	s_delay_alu instid0(SALU_CYCLE_1) | instskip(SKIP_1) | instid1(SALU_CYCLE_2)
	s_cvt_u32_f32 s22, s2
	s_wait_alu 0xfffe
	s_mul_u64 s[26:27], s[24:25], s[22:23]
	s_wait_alu 0xfffe
	s_mul_hi_u32 s29, s22, s27
	s_mul_i32 s28, s22, s27
	s_mul_hi_u32 s2, s22, s26
	s_mul_i32 s30, s23, s26
	s_wait_alu 0xfffe
	s_add_nc_u64 s[28:29], s[2:3], s[28:29]
	s_mul_hi_u32 s21, s23, s26
	s_mul_hi_u32 s31, s23, s27
	s_add_co_u32 s2, s28, s30
	s_wait_alu 0xfffe
	s_add_co_ci_u32 s2, s29, s21
	s_mul_i32 s26, s23, s27
	s_add_co_ci_u32 s27, s31, 0
	s_wait_alu 0xfffe
	s_add_nc_u64 s[26:27], s[2:3], s[26:27]
	s_wait_alu 0xfffe
	v_add_co_u32 v4, s2, s22, s26
	s_delay_alu instid0(VALU_DEP_1) | instskip(SKIP_1) | instid1(VALU_DEP_1)
	s_cmp_lg_u32 s2, 0
	s_add_co_ci_u32 s23, s23, s27
	v_readfirstlane_b32 s22, v4
	s_wait_alu 0xfffe
	s_delay_alu instid0(VALU_DEP_1)
	s_mul_u64 s[24:25], s[24:25], s[22:23]
	s_wait_alu 0xfffe
	s_mul_hi_u32 s27, s22, s25
	s_mul_i32 s26, s22, s25
	s_mul_hi_u32 s2, s22, s24
	s_mul_i32 s28, s23, s24
	s_wait_alu 0xfffe
	s_add_nc_u64 s[26:27], s[2:3], s[26:27]
	s_mul_hi_u32 s21, s23, s24
	s_mul_hi_u32 s22, s23, s25
	s_wait_alu 0xfffe
	s_add_co_u32 s2, s26, s28
	s_add_co_ci_u32 s2, s27, s21
	s_mul_i32 s24, s23, s25
	s_add_co_ci_u32 s25, s22, 0
	s_wait_alu 0xfffe
	s_add_nc_u64 s[24:25], s[2:3], s[24:25]
	s_wait_alu 0xfffe
	v_add_co_u32 v4, s2, v4, s24
	s_delay_alu instid0(VALU_DEP_1) | instskip(SKIP_1) | instid1(VALU_DEP_1)
	s_cmp_lg_u32 s2, 0
	s_add_co_ci_u32 s2, s23, s25
	v_mul_hi_u32 v14, v5, v4
	s_wait_alu 0xfffe
	v_mad_co_u64_u32 v[7:8], null, v5, s2, 0
	v_mad_co_u64_u32 v[10:11], null, v6, v4, 0
	;; [unrolled: 1-line block ×3, first 2 shown]
	s_delay_alu instid0(VALU_DEP_3) | instskip(SKIP_1) | instid1(VALU_DEP_4)
	v_add_co_u32 v4, vcc_lo, v14, v7
	s_wait_alu 0xfffd
	v_add_co_ci_u32_e32 v7, vcc_lo, 0, v8, vcc_lo
	s_delay_alu instid0(VALU_DEP_2) | instskip(SKIP_1) | instid1(VALU_DEP_2)
	v_add_co_u32 v4, vcc_lo, v4, v10
	s_wait_alu 0xfffd
	v_add_co_ci_u32_e32 v4, vcc_lo, v7, v11, vcc_lo
	s_wait_alu 0xfffd
	v_add_co_ci_u32_e32 v7, vcc_lo, 0, v13, vcc_lo
	s_delay_alu instid0(VALU_DEP_2) | instskip(SKIP_1) | instid1(VALU_DEP_2)
	v_add_co_u32 v4, vcc_lo, v4, v12
	s_wait_alu 0xfffd
	v_add_co_ci_u32_e32 v10, vcc_lo, 0, v7, vcc_lo
	s_delay_alu instid0(VALU_DEP_2) | instskip(SKIP_1) | instid1(VALU_DEP_3)
	v_mul_lo_u32 v11, s19, v4
	v_mad_co_u64_u32 v[7:8], null, s18, v4, 0
	v_mul_lo_u32 v12, s18, v10
	s_delay_alu instid0(VALU_DEP_2) | instskip(NEXT) | instid1(VALU_DEP_2)
	v_sub_co_u32 v7, vcc_lo, v5, v7
	v_add3_u32 v8, v8, v12, v11
	s_delay_alu instid0(VALU_DEP_1) | instskip(SKIP_1) | instid1(VALU_DEP_1)
	v_sub_nc_u32_e32 v11, v6, v8
	s_wait_alu 0xfffd
	v_subrev_co_ci_u32_e64 v11, s2, s19, v11, vcc_lo
	v_add_co_u32 v12, s2, v4, 2
	s_wait_alu 0xf1ff
	v_add_co_ci_u32_e64 v13, s2, 0, v10, s2
	v_sub_co_u32 v14, s2, v7, s18
	v_sub_co_ci_u32_e32 v8, vcc_lo, v6, v8, vcc_lo
	s_wait_alu 0xf1ff
	v_subrev_co_ci_u32_e64 v11, s2, 0, v11, s2
	s_delay_alu instid0(VALU_DEP_3) | instskip(NEXT) | instid1(VALU_DEP_3)
	v_cmp_le_u32_e32 vcc_lo, s18, v14
	v_cmp_eq_u32_e64 s2, s19, v8
	s_wait_alu 0xfffd
	v_cndmask_b32_e64 v14, 0, -1, vcc_lo
	v_cmp_le_u32_e32 vcc_lo, s19, v11
	s_wait_alu 0xfffd
	v_cndmask_b32_e64 v15, 0, -1, vcc_lo
	v_cmp_le_u32_e32 vcc_lo, s18, v7
	;; [unrolled: 3-line block ×3, first 2 shown]
	s_wait_alu 0xfffd
	v_cndmask_b32_e64 v16, 0, -1, vcc_lo
	v_cmp_eq_u32_e32 vcc_lo, s19, v11
	s_wait_alu 0xf1ff
	s_delay_alu instid0(VALU_DEP_2)
	v_cndmask_b32_e64 v7, v16, v7, s2
	s_wait_alu 0xfffd
	v_cndmask_b32_e32 v11, v15, v14, vcc_lo
	v_add_co_u32 v14, vcc_lo, v4, 1
	s_wait_alu 0xfffd
	v_add_co_ci_u32_e32 v15, vcc_lo, 0, v10, vcc_lo
	s_delay_alu instid0(VALU_DEP_3) | instskip(SKIP_1) | instid1(VALU_DEP_2)
	v_cmp_ne_u32_e32 vcc_lo, 0, v11
	s_wait_alu 0xfffd
	v_dual_cndmask_b32 v8, v15, v13 :: v_dual_cndmask_b32 v11, v14, v12
	v_cmp_ne_u32_e32 vcc_lo, 0, v7
	s_wait_alu 0xfffd
	s_delay_alu instid0(VALU_DEP_2)
	v_dual_cndmask_b32 v8, v10, v8 :: v_dual_cndmask_b32 v7, v4, v11
.LBB0_4:                                ;   in Loop: Header=BB0_2 Depth=1
	s_wait_alu 0xfffe
	s_and_not1_saveexec_b32 s2, s20
	s_cbranch_execz .LBB0_6
; %bb.5:                                ;   in Loop: Header=BB0_2 Depth=1
	v_cvt_f32_u32_e32 v4, s18
	s_sub_co_i32 s20, 0, s18
	s_delay_alu instid0(VALU_DEP_1) | instskip(NEXT) | instid1(TRANS32_DEP_1)
	v_rcp_iflag_f32_e32 v4, v4
	v_mul_f32_e32 v4, 0x4f7ffffe, v4
	s_delay_alu instid0(VALU_DEP_1) | instskip(SKIP_1) | instid1(VALU_DEP_1)
	v_cvt_u32_f32_e32 v4, v4
	s_wait_alu 0xfffe
	v_mul_lo_u32 v7, s20, v4
	s_delay_alu instid0(VALU_DEP_1) | instskip(NEXT) | instid1(VALU_DEP_1)
	v_mul_hi_u32 v7, v4, v7
	v_add_nc_u32_e32 v4, v4, v7
	s_delay_alu instid0(VALU_DEP_1) | instskip(NEXT) | instid1(VALU_DEP_1)
	v_mul_hi_u32 v4, v5, v4
	v_mul_lo_u32 v7, v4, s18
	v_add_nc_u32_e32 v8, 1, v4
	s_delay_alu instid0(VALU_DEP_2) | instskip(NEXT) | instid1(VALU_DEP_1)
	v_sub_nc_u32_e32 v7, v5, v7
	v_subrev_nc_u32_e32 v10, s18, v7
	v_cmp_le_u32_e32 vcc_lo, s18, v7
	s_wait_alu 0xfffd
	s_delay_alu instid0(VALU_DEP_2) | instskip(NEXT) | instid1(VALU_DEP_1)
	v_dual_cndmask_b32 v7, v7, v10 :: v_dual_cndmask_b32 v4, v4, v8
	v_cmp_le_u32_e32 vcc_lo, s18, v7
	s_delay_alu instid0(VALU_DEP_2) | instskip(SKIP_1) | instid1(VALU_DEP_1)
	v_add_nc_u32_e32 v8, 1, v4
	s_wait_alu 0xfffd
	v_dual_cndmask_b32 v7, v4, v8 :: v_dual_mov_b32 v8, v3
.LBB0_6:                                ;   in Loop: Header=BB0_2 Depth=1
	s_wait_alu 0xfffe
	s_or_b32 exec_lo, exec_lo, s2
	s_load_b64 s[20:21], s[12:13], 0x0
	s_delay_alu instid0(VALU_DEP_1)
	v_mul_lo_u32 v4, v8, s18
	v_mul_lo_u32 v12, v7, s19
	v_mad_co_u64_u32 v[10:11], null, v7, s18, 0
	s_add_nc_u64 s[14:15], s[14:15], 1
	s_add_nc_u64 s[12:13], s[12:13], 8
	s_wait_alu 0xfffe
	v_cmp_ge_u64_e64 s2, s[14:15], s[6:7]
	s_add_nc_u64 s[16:17], s[16:17], 8
	s_delay_alu instid0(VALU_DEP_2) | instskip(NEXT) | instid1(VALU_DEP_3)
	v_add3_u32 v4, v11, v12, v4
	v_sub_co_u32 v5, vcc_lo, v5, v10
	s_wait_alu 0xfffd
	s_delay_alu instid0(VALU_DEP_2) | instskip(SKIP_3) | instid1(VALU_DEP_2)
	v_sub_co_ci_u32_e32 v4, vcc_lo, v6, v4, vcc_lo
	s_and_b32 vcc_lo, exec_lo, s2
	s_wait_kmcnt 0x0
	v_mul_lo_u32 v6, s21, v5
	v_mul_lo_u32 v4, s20, v4
	v_mad_co_u64_u32 v[1:2], null, s20, v5, v[1:2]
	s_delay_alu instid0(VALU_DEP_1)
	v_add3_u32 v2, v6, v2, v4
	s_wait_alu 0xfffe
	s_cbranch_vccnz .LBB0_9
; %bb.7:                                ;   in Loop: Header=BB0_2 Depth=1
	v_dual_mov_b32 v5, v7 :: v_dual_mov_b32 v6, v8
	s_branch .LBB0_2
.LBB0_8:
	v_dual_mov_b32 v8, v6 :: v_dual_mov_b32 v7, v5
.LBB0_9:
	s_lshl_b64 s[2:3], s[6:7], 3
	v_mul_hi_u32 v3, 0x5555556, v0
	s_wait_alu 0xfffe
	s_add_nc_u64 s[2:3], s[10:11], s[2:3]
	v_and_b32_e32 v6, 1, v9
	s_load_b64 s[2:3], s[2:3], 0x0
	s_load_b64 s[0:1], s[0:1], 0x20
	s_delay_alu instid0(VALU_DEP_1) | instskip(NEXT) | instid1(VALU_DEP_3)
	v_cmp_eq_u32_e32 vcc_lo, 1, v6
	v_mul_u32_u24_e32 v3, 48, v3
	s_delay_alu instid0(VALU_DEP_1) | instskip(NEXT) | instid1(VALU_DEP_1)
	v_sub_nc_u32_e32 v24, v0, v3
	v_lshlrev_b32_e32 v53, 4, v24
	s_wait_kmcnt 0x0
	v_mul_lo_u32 v4, s2, v8
	v_mul_lo_u32 v5, s3, v7
	v_mad_co_u64_u32 v[1:2], null, s2, v7, v[1:2]
	s_delay_alu instid0(VALU_DEP_1) | instskip(SKIP_3) | instid1(VALU_DEP_3)
	v_add3_u32 v2, v5, v2, v4
	s_wait_alu 0xfffd
	v_cndmask_b32_e64 v4, 0, 0xf1, vcc_lo
	v_cmp_gt_u64_e32 vcc_lo, s[0:1], v[7:8]
	v_lshlrev_b64_e32 v[26:27], 4, v[1:2]
	s_delay_alu instid0(VALU_DEP_3)
	v_lshlrev_b32_e32 v55, 4, v4
	s_and_saveexec_b32 s1, vcc_lo
	s_cbranch_execz .LBB0_11
; %bb.10:
	v_mov_b32_e32 v25, 0
	s_delay_alu instid0(VALU_DEP_3) | instskip(SKIP_2) | instid1(VALU_DEP_3)
	v_add_co_u32 v2, s0, s8, v26
	s_wait_alu 0xf1ff
	v_add_co_ci_u32_e64 v3, s0, s9, v27, s0
	v_lshlrev_b64_e32 v[0:1], 4, v[24:25]
	v_add3_u32 v20, 0, v55, v53
	s_delay_alu instid0(VALU_DEP_2) | instskip(SKIP_1) | instid1(VALU_DEP_3)
	v_add_co_u32 v16, s0, v2, v0
	s_wait_alu 0xf1ff
	v_add_co_ci_u32_e64 v17, s0, v3, v1, s0
	s_clause 0x4
	global_load_b128 v[0:3], v[16:17], off
	global_load_b128 v[4:7], v[16:17], off offset:768
	global_load_b128 v[8:11], v[16:17], off offset:1536
	;; [unrolled: 1-line block ×4, first 2 shown]
	s_wait_loadcnt 0x4
	ds_store_b128 v20, v[0:3]
	s_wait_loadcnt 0x3
	ds_store_b128 v20, v[4:7] offset:768
	s_wait_loadcnt 0x2
	ds_store_b128 v20, v[8:11] offset:1536
	s_wait_loadcnt 0x1
	ds_store_b128 v20, v[12:15] offset:2304
	s_wait_loadcnt 0x0
	ds_store_b128 v20, v[16:19] offset:3072
.LBB0_11:
	s_wait_alu 0xfffe
	s_or_b32 exec_lo, exec_lo, s1
	v_add_nc_u32_e32 v56, 0, v53
	v_add_nc_u32_e32 v25, 0, v55
	global_wb scope:SCOPE_SE
	s_wait_dscnt 0x0
	s_barrier_signal -1
	s_barrier_wait -1
	v_add_nc_u32_e32 v54, v56, v55
	v_add_nc_u32_e32 v52, v25, v53
	global_inv scope:SCOPE_SE
	s_mov_b32 s2, 0x667f3bcd
	s_mov_b32 s3, 0xbfe6a09e
	ds_load_b128 v[0:3], v54 offset:1920
	ds_load_b128 v[8:11], v52
	ds_load_b128 v[4:7], v54 offset:960
	ds_load_b128 v[20:23], v54 offset:2880
	;; [unrolled: 1-line block ×6, first 2 shown]
	s_mov_b32 s7, 0x3fe6a09e
	s_wait_alu 0xfffe
	s_mov_b32 s6, s2
	s_mov_b32 s1, exec_lo
	global_wb scope:SCOPE_SE
	s_wait_dscnt 0x0
	s_barrier_signal -1
	s_barrier_wait -1
	global_inv scope:SCOPE_SE
	v_add_f64_e64 v[38:39], v[8:9], -v[0:1]
	v_add_f64_e64 v[46:47], v[10:11], -v[2:3]
	v_add_f64_e64 v[36:37], v[4:5], -v[20:21]
	v_add_f64_e64 v[50:51], v[6:7], -v[22:23]
	v_add_f64_e64 v[48:49], v[16:17], -v[28:29]
	v_add_f64_e64 v[40:41], v[18:19], -v[30:31]
	v_add_f64_e64 v[44:45], v[14:15], -v[34:35]
	v_add_f64_e64 v[42:43], v[12:13], -v[32:33]
	v_add_f64_e64 v[28:29], v[46:47], -v[36:37]
	v_add_f64_e32 v[20:21], v[38:39], v[50:51]
	s_delay_alu instid0(VALU_DEP_4) | instskip(NEXT) | instid1(VALU_DEP_4)
	v_add_f64_e32 v[34:35], v[48:49], v[44:45]
	v_add_f64_e64 v[32:33], v[40:41], -v[42:43]
	s_delay_alu instid0(VALU_DEP_4) | instskip(NEXT) | instid1(VALU_DEP_4)
	v_fma_f64 v[30:31], v[46:47], 2.0, -v[28:29]
	v_fma_f64 v[22:23], v[38:39], 2.0, -v[20:21]
	s_delay_alu instid0(VALU_DEP_4) | instskip(NEXT) | instid1(VALU_DEP_4)
	v_fma_f64 v[2:3], v[48:49], 2.0, -v[34:35]
	v_fma_f64 v[0:1], v[40:41], 2.0, -v[32:33]
	s_delay_alu instid0(VALU_DEP_2) | instskip(NEXT) | instid1(VALU_DEP_2)
	v_fma_f64 v[57:58], v[2:3], s[2:3], v[22:23]
	v_fma_f64 v[59:60], v[0:1], s[2:3], v[30:31]
	s_wait_alu 0xfffe
	s_delay_alu instid0(VALU_DEP_2) | instskip(NEXT) | instid1(VALU_DEP_2)
	v_fma_f64 v[0:1], v[0:1], s[6:7], v[57:58]
	v_fma_f64 v[2:3], v[2:3], s[2:3], v[59:60]
	v_cmpx_gt_u32_e32 30, v24
	s_cbranch_execz .LBB0_13
; %bb.12:
	v_fma_f64 v[10:11], v[10:11], 2.0, -v[46:47]
	v_fma_f64 v[6:7], v[6:7], 2.0, -v[50:51]
	;; [unrolled: 1-line block ×9, first 2 shown]
	v_add_f64_e64 v[36:37], v[10:11], -v[6:7]
	v_fma_f64 v[6:7], v[32:33], s[6:7], v[28:29]
	v_add_f64_e64 v[14:15], v[18:19], -v[14:15]
	v_add_f64_e64 v[38:39], v[8:9], -v[4:5]
	;; [unrolled: 1-line block ×3, first 2 shown]
	v_fma_f64 v[12:13], v[34:35], s[6:7], v[20:21]
	v_fma_f64 v[40:41], v[10:11], 2.0, -v[36:37]
	v_fma_f64 v[6:7], v[34:35], s[2:3], v[6:7]
	v_fma_f64 v[18:19], v[18:19], 2.0, -v[14:15]
	v_fma_f64 v[42:43], v[8:9], 2.0, -v[38:39]
	;; [unrolled: 1-line block ×3, first 2 shown]
	v_add_f64_e64 v[10:11], v[36:37], -v[4:5]
	v_add_f64_e32 v[8:9], v[38:39], v[14:15]
	v_fma_f64 v[4:5], v[32:33], s[6:7], v[12:13]
	v_add_f64_e64 v[14:15], v[40:41], -v[18:19]
	v_fma_f64 v[18:19], v[28:29], 2.0, -v[6:7]
	v_add_f64_e64 v[12:13], v[42:43], -v[16:17]
	v_fma_f64 v[34:35], v[36:37], 2.0, -v[10:11]
	v_fma_f64 v[32:33], v[38:39], 2.0, -v[8:9]
	;; [unrolled: 1-line block ×4, first 2 shown]
	v_mul_u32_u24_e32 v20, 0x70, v24
	s_delay_alu instid0(VALU_DEP_1)
	v_add3_u32 v20, v56, v20, v55
	v_fma_f64 v[38:39], v[40:41], 2.0, -v[14:15]
	v_fma_f64 v[36:37], v[42:43], 2.0, -v[12:13]
	ds_store_b128 v20, v[32:35] offset:32
	ds_store_b128 v20, v[16:19] offset:48
	;; [unrolled: 1-line block ×4, first 2 shown]
	ds_store_b128 v20, v[36:39]
	ds_store_b128 v20, v[28:31] offset:16
	ds_store_b128 v20, v[8:11] offset:96
	;; [unrolled: 1-line block ×3, first 2 shown]
.LBB0_13:
	s_or_b32 exec_lo, exec_lo, s1
	v_and_b32_e32 v64, 7, v24
	global_wb scope:SCOPE_SE
	s_wait_dscnt 0x0
	s_barrier_signal -1
	s_barrier_wait -1
	global_inv scope:SCOPE_SE
	v_lshlrev_b32_e32 v16, 6, v64
	s_mov_b32 s0, 0x134454ff
	s_mov_b32 s1, 0xbfee6f0e
	;; [unrolled: 1-line block ×3, first 2 shown]
	s_wait_alu 0xfffe
	s_mov_b32 s2, s0
	s_clause 0x3
	global_load_b128 v[4:7], v16, s[4:5]
	global_load_b128 v[8:11], v16, s[4:5] offset:16
	global_load_b128 v[12:15], v16, s[4:5] offset:32
	;; [unrolled: 1-line block ×3, first 2 shown]
	ds_load_b128 v[20:23], v54 offset:768
	ds_load_b128 v[28:31], v54 offset:1536
	;; [unrolled: 1-line block ×4, first 2 shown]
	s_wait_loadcnt_dscnt 0x303
	v_mul_f64_e32 v[40:41], v[22:23], v[6:7]
	s_wait_loadcnt_dscnt 0x202
	v_mul_f64_e32 v[42:43], v[30:31], v[10:11]
	;; [unrolled: 2-line block ×3, first 2 shown]
	v_mul_f64_e32 v[6:7], v[20:21], v[6:7]
	s_wait_loadcnt_dscnt 0x0
	v_mul_f64_e32 v[46:47], v[38:39], v[18:19]
	v_mul_f64_e32 v[10:11], v[28:29], v[10:11]
	;; [unrolled: 1-line block ×4, first 2 shown]
	v_fma_f64 v[20:21], v[20:21], v[4:5], v[40:41]
	v_fma_f64 v[28:29], v[28:29], v[8:9], v[42:43]
	v_fma_f64 v[32:33], v[32:33], v[12:13], v[44:45]
	v_fma_f64 v[22:23], v[22:23], v[4:5], -v[6:7]
	v_fma_f64 v[36:37], v[36:37], v[16:17], v[46:47]
	v_fma_f64 v[8:9], v[30:31], v[8:9], -v[10:11]
	v_fma_f64 v[10:11], v[34:35], v[12:13], -v[14:15]
	;; [unrolled: 1-line block ×3, first 2 shown]
	ds_load_b128 v[4:7], v52
	global_wb scope:SCOPE_SE
	s_wait_dscnt 0x0
	s_barrier_signal -1
	s_barrier_wait -1
	global_inv scope:SCOPE_SE
	v_add_f64_e32 v[34:35], v[4:5], v[20:21]
	v_add_f64_e32 v[14:15], v[28:29], v[32:33]
	;; [unrolled: 1-line block ×4, first 2 shown]
	v_add_f64_e64 v[44:45], v[20:21], -v[36:37]
	v_add_f64_e32 v[18:19], v[8:9], v[10:11]
	v_add_f64_e32 v[30:31], v[22:23], v[12:13]
	v_add_f64_e64 v[38:39], v[22:23], -v[12:13]
	v_add_f64_e64 v[40:41], v[8:9], -v[10:11]
	;; [unrolled: 1-line block ×8, first 2 shown]
	v_fma_f64 v[14:15], v[14:15], -0.5, v[4:5]
	v_add_f64_e32 v[8:9], v[42:43], v[8:9]
	v_fma_f64 v[4:5], v[16:17], -0.5, v[4:5]
	v_add_f64_e64 v[16:17], v[28:29], -v[32:33]
	v_fma_f64 v[18:19], v[18:19], -0.5, v[6:7]
	v_fma_f64 v[6:7], v[30:31], -0.5, v[6:7]
	v_add_f64_e64 v[30:31], v[20:21], -v[28:29]
	v_add_f64_e64 v[20:21], v[28:29], -v[20:21]
	v_add_f64_e32 v[28:29], v[34:35], v[28:29]
	v_add_f64_e32 v[22:23], v[22:23], v[58:59]
	v_fma_f64 v[34:35], v[38:39], s[0:1], v[14:15]
	s_wait_alu 0xfffe
	v_fma_f64 v[14:15], v[38:39], s[2:3], v[14:15]
	v_fma_f64 v[42:43], v[40:41], s[2:3], v[4:5]
	;; [unrolled: 1-line block ×7, first 2 shown]
	s_mov_b32 s0, 0x4755a5e
	s_mov_b32 s1, 0xbfe2cf23
	;; [unrolled: 1-line block ×3, first 2 shown]
	s_wait_alu 0xfffe
	s_mov_b32 s2, s0
	v_add_f64_e32 v[30:31], v[30:31], v[46:47]
	v_add_f64_e32 v[46:47], v[20:21], v[48:49]
	;; [unrolled: 1-line block ×5, first 2 shown]
	v_fma_f64 v[10:11], v[40:41], s[0:1], v[34:35]
	s_wait_alu 0xfffe
	v_fma_f64 v[14:15], v[40:41], s[2:3], v[14:15]
	v_fma_f64 v[28:29], v[38:39], s[0:1], v[42:43]
	;; [unrolled: 1-line block ×7, first 2 shown]
	s_mov_b32 s0, 0x372fe950
	s_mov_b32 s1, 0x3fd3c6ef
	v_add_f64_e32 v[4:5], v[20:21], v[36:37]
	v_add_f64_e32 v[6:7], v[8:9], v[12:13]
	s_wait_alu 0xfffe
	v_fma_f64 v[8:9], v[30:31], s[0:1], v[10:11]
	v_fma_f64 v[20:21], v[30:31], s[0:1], v[14:15]
	;; [unrolled: 1-line block ×8, first 2 shown]
	v_lshrrev_b32_e32 v28, 3, v24
	v_cmp_gt_u32_e64 s0, 40, v24
	s_delay_alu instid0(VALU_DEP_2) | instskip(NEXT) | instid1(VALU_DEP_1)
	v_mul_u32_u24_e32 v28, 40, v28
	v_or_b32_e32 v28, v28, v64
	s_delay_alu instid0(VALU_DEP_1) | instskip(NEXT) | instid1(VALU_DEP_1)
	v_lshlrev_b32_e32 v28, 4, v28
	v_add3_u32 v28, 0, v28, v55
	ds_store_b128 v28, v[4:7]
	ds_store_b128 v28, v[8:11] offset:128
	ds_store_b128 v28, v[12:15] offset:256
	;; [unrolled: 1-line block ×4, first 2 shown]
	global_wb scope:SCOPE_SE
	s_wait_dscnt 0x0
	s_barrier_signal -1
	s_barrier_wait -1
	global_inv scope:SCOPE_SE
	s_and_saveexec_b32 s1, s0
	s_cbranch_execz .LBB0_15
; %bb.14:
	ds_load_b128 v[4:7], v52
	ds_load_b128 v[8:11], v54 offset:640
	ds_load_b128 v[12:15], v54 offset:1280
	;; [unrolled: 1-line block ×5, first 2 shown]
.LBB0_15:
	s_wait_alu 0xfffe
	s_or_b32 exec_lo, exec_lo, s1
	global_wb scope:SCOPE_SE
	s_wait_dscnt 0x0
	s_barrier_signal -1
	s_barrier_wait -1
	global_inv scope:SCOPE_SE
	s_and_saveexec_b32 s1, s0
	s_cbranch_execz .LBB0_17
; %bb.16:
	v_subrev_nc_u32_e32 v28, 40, v24
	v_mov_b32_e32 v29, 0
	s_mov_b32 s2, 0xe8584caa
	s_mov_b32 s3, 0xbfebb67a
	;; [unrolled: 1-line block ×3, first 2 shown]
	v_cndmask_b32_e64 v28, v28, v24, s0
	s_wait_alu 0xfffe
	s_mov_b32 s6, s2
	s_delay_alu instid0(VALU_DEP_1) | instskip(NEXT) | instid1(VALU_DEP_1)
	v_mul_i32_i24_e32 v28, 5, v28
	v_lshlrev_b64_e32 v[28:29], 4, v[28:29]
	s_delay_alu instid0(VALU_DEP_1) | instskip(SKIP_1) | instid1(VALU_DEP_2)
	v_add_co_u32 v44, s0, s4, v28
	s_wait_alu 0xf1ff
	v_add_co_ci_u32_e64 v45, s0, s5, v29, s0
	s_clause 0x4
	global_load_b128 v[28:31], v[44:45], off offset:544
	global_load_b128 v[32:35], v[44:45], off offset:576
	global_load_b128 v[36:39], v[44:45], off offset:512
	global_load_b128 v[40:43], v[44:45], off offset:528
	global_load_b128 v[44:47], v[44:45], off offset:560
	s_wait_loadcnt 0x4
	v_mul_f64_e32 v[48:49], v[16:17], v[30:31]
	s_wait_loadcnt 0x3
	v_mul_f64_e32 v[50:51], v[0:1], v[34:35]
	v_mul_f64_e32 v[30:31], v[18:19], v[30:31]
	;; [unrolled: 1-line block ×3, first 2 shown]
	s_wait_loadcnt 0x2
	v_mul_f64_e32 v[55:56], v[8:9], v[38:39]
	v_mul_f64_e32 v[38:39], v[10:11], v[38:39]
	v_fma_f64 v[18:19], v[18:19], v[28:29], -v[48:49]
	v_fma_f64 v[2:3], v[2:3], v[32:33], -v[50:51]
	s_wait_loadcnt 0x1
	v_mul_f64_e32 v[48:49], v[12:13], v[42:43]
	s_wait_loadcnt 0x0
	v_mul_f64_e32 v[50:51], v[20:21], v[46:47]
	v_mul_f64_e32 v[42:43], v[14:15], v[42:43]
	;; [unrolled: 1-line block ×3, first 2 shown]
	v_fma_f64 v[16:17], v[16:17], v[28:29], v[30:31]
	v_fma_f64 v[0:1], v[0:1], v[32:33], v[34:35]
	v_fma_f64 v[10:11], v[10:11], v[36:37], -v[55:56]
	v_fma_f64 v[8:9], v[8:9], v[36:37], v[38:39]
	v_add_f64_e32 v[28:29], v[18:19], v[2:3]
	v_fma_f64 v[14:15], v[14:15], v[40:41], -v[48:49]
	v_fma_f64 v[22:23], v[22:23], v[44:45], -v[50:51]
	v_fma_f64 v[12:13], v[12:13], v[40:41], v[42:43]
	v_fma_f64 v[20:21], v[20:21], v[44:45], v[46:47]
	v_add_f64_e64 v[36:37], v[18:19], -v[2:3]
	v_add_f64_e32 v[30:31], v[16:17], v[0:1]
	v_add_f64_e64 v[32:33], v[16:17], -v[0:1]
	v_fma_f64 v[28:29], v[28:29], -0.5, v[10:11]
	v_add_f64_e32 v[42:43], v[6:7], v[14:15]
	v_add_f64_e32 v[34:35], v[14:15], v[22:23]
	;; [unrolled: 1-line block ×4, first 2 shown]
	v_add_f64_e64 v[14:15], v[14:15], -v[22:23]
	v_fma_f64 v[30:31], v[30:31], -0.5, v[8:9]
	v_add_f64_e32 v[8:9], v[8:9], v[16:17]
	v_fma_f64 v[40:41], v[32:33], s[2:3], v[28:29]
	s_wait_alu 0xfffe
	v_fma_f64 v[28:29], v[32:33], s[6:7], v[28:29]
	v_add_f64_e64 v[32:33], v[12:13], -v[20:21]
	v_add_f64_e32 v[12:13], v[4:5], v[12:13]
	v_fma_f64 v[6:7], v[34:35], -0.5, v[6:7]
	v_fma_f64 v[4:5], v[38:39], -0.5, v[4:5]
	v_fma_f64 v[16:17], v[36:37], s[6:7], v[30:31]
	v_fma_f64 v[30:31], v[36:37], s[2:3], v[30:31]
	v_add_f64_e32 v[22:23], v[42:43], v[22:23]
	v_add_f64_e32 v[10:11], v[10:11], v[2:3]
	;; [unrolled: 1-line block ×3, first 2 shown]
	v_mul_f64_e32 v[18:19], -0.5, v[40:41]
	v_mul_f64_e32 v[34:35], 0.5, v[28:29]
	v_mul_f64_e32 v[28:29], s[2:3], v[28:29]
	v_mul_f64_e32 v[36:37], s[2:3], v[40:41]
	v_add_f64_e32 v[12:13], v[12:13], v[20:21]
	v_fma_f64 v[20:21], v[32:33], s[2:3], v[6:7]
	v_fma_f64 v[32:33], v[32:33], s[6:7], v[6:7]
	;; [unrolled: 1-line block ×4, first 2 shown]
	v_add_f64_e32 v[6:7], v[22:23], v[10:11]
	v_add_f64_e64 v[2:3], v[22:23], -v[10:11]
	v_fma_f64 v[18:19], v[16:17], s[6:7], v[18:19]
	v_fma_f64 v[34:35], v[30:31], s[6:7], v[34:35]
	v_fma_f64 v[28:29], v[30:31], 0.5, v[28:29]
	v_fma_f64 v[30:31], v[16:17], -0.5, v[36:37]
	v_add_f64_e32 v[4:5], v[12:13], v[8:9]
	v_add_f64_e64 v[0:1], v[12:13], -v[8:9]
	v_add_f64_e64 v[10:11], v[20:21], -v[18:19]
	v_add_f64_e32 v[14:15], v[20:21], v[18:19]
	v_add_f64_e32 v[18:19], v[32:33], v[34:35]
	;; [unrolled: 1-line block ×4, first 2 shown]
	v_add_f64_e64 v[22:23], v[32:33], -v[34:35]
	v_add_f64_e64 v[20:21], v[40:41], -v[28:29]
	;; [unrolled: 1-line block ×3, first 2 shown]
	ds_store_b128 v52, v[4:7]
	ds_store_b128 v54, v[16:19] offset:640
	ds_store_b128 v54, v[12:15] offset:1280
	;; [unrolled: 1-line block ×5, first 2 shown]
.LBB0_17:
	s_wait_alu 0xfffe
	s_or_b32 exec_lo, exec_lo, s1
	global_wb scope:SCOPE_SE
	s_wait_dscnt 0x0
	s_barrier_signal -1
	s_barrier_wait -1
	global_inv scope:SCOPE_SE
	ds_load_b128 v[4:7], v52
	v_sub_nc_u32_e32 v12, v25, v53
	s_mov_b32 s1, exec_lo
                                        ; implicit-def: $vgpr2_vgpr3
                                        ; implicit-def: $vgpr8_vgpr9
                                        ; implicit-def: $vgpr10_vgpr11
	v_cmpx_ne_u32_e32 0, v24
	s_wait_alu 0xfffe
	s_xor_b32 s1, exec_lo, s1
	s_cbranch_execz .LBB0_19
; %bb.18:
	v_mov_b32_e32 v25, 0
	s_delay_alu instid0(VALU_DEP_1) | instskip(NEXT) | instid1(VALU_DEP_1)
	v_lshlrev_b64_e32 v[0:1], 4, v[24:25]
	v_add_co_u32 v0, s0, s4, v0
	s_wait_alu 0xf1ff
	s_delay_alu instid0(VALU_DEP_2)
	v_add_co_ci_u32_e64 v1, s0, s5, v1, s0
	global_load_b128 v[13:16], v[0:1], off offset:3712
	ds_load_b128 v[0:3], v12 offset:3840
	s_wait_dscnt 0x0
	v_add_f64_e64 v[8:9], v[4:5], -v[0:1]
	v_add_f64_e32 v[10:11], v[6:7], v[2:3]
	v_add_f64_e64 v[2:3], v[6:7], -v[2:3]
	v_add_f64_e32 v[0:1], v[4:5], v[0:1]
	s_delay_alu instid0(VALU_DEP_4) | instskip(NEXT) | instid1(VALU_DEP_4)
	v_mul_f64_e32 v[6:7], 0.5, v[8:9]
	v_mul_f64_e32 v[4:5], 0.5, v[10:11]
	s_delay_alu instid0(VALU_DEP_4) | instskip(SKIP_1) | instid1(VALU_DEP_3)
	v_mul_f64_e32 v[2:3], 0.5, v[2:3]
	s_wait_loadcnt 0x0
	v_mul_f64_e32 v[8:9], v[6:7], v[15:16]
	s_delay_alu instid0(VALU_DEP_2) | instskip(SKIP_1) | instid1(VALU_DEP_3)
	v_fma_f64 v[10:11], v[4:5], v[15:16], v[2:3]
	v_fma_f64 v[2:3], v[4:5], v[15:16], -v[2:3]
	v_fma_f64 v[17:18], v[0:1], 0.5, v[8:9]
	v_fma_f64 v[0:1], v[0:1], 0.5, -v[8:9]
	s_delay_alu instid0(VALU_DEP_4) | instskip(NEXT) | instid1(VALU_DEP_4)
	v_fma_f64 v[8:9], -v[13:14], v[6:7], v[10:11]
	v_fma_f64 v[2:3], -v[13:14], v[6:7], v[2:3]
	v_dual_mov_b32 v10, v24 :: v_dual_mov_b32 v11, v25
                                        ; implicit-def: $vgpr25
	v_fma_f64 v[15:16], v[4:5], v[13:14], v[17:18]
	v_fma_f64 v[0:1], -v[4:5], v[13:14], v[0:1]
                                        ; implicit-def: $vgpr4_vgpr5
	ds_store_b64 v52, v[15:16]
.LBB0_19:
	s_wait_alu 0xfffe
	s_and_not1_saveexec_b32 s0, s1
	s_cbranch_execz .LBB0_21
; %bb.20:
	s_wait_dscnt 0x0
	v_add_f64_e32 v[13:14], v[4:5], v[6:7]
	v_add_f64_e64 v[0:1], v[4:5], -v[6:7]
	ds_load_b64 v[4:5], v25 offset:1928
	v_mov_b32_e32 v8, 0
	v_dual_mov_b32 v9, 0 :: v_dual_mov_b32 v10, 0
	s_delay_alu instid0(VALU_DEP_2) | instskip(NEXT) | instid1(VALU_DEP_2)
	v_dual_mov_b32 v11, 0 :: v_dual_mov_b32 v2, v8
	v_mov_b32_e32 v3, v9
	s_wait_dscnt 0x0
	v_xor_b32_e32 v5, 0x80000000, v5
	ds_store_b64 v52, v[13:14]
	ds_store_b64 v25, v[4:5] offset:1928
.LBB0_21:
	s_wait_alu 0xfffe
	s_or_b32 exec_lo, exec_lo, s0
	s_wait_dscnt 0x0
	v_lshlrev_b64_e32 v[4:5], 4, v[10:11]
	s_add_nc_u64 s[0:1], s[4:5], 0xe80
	s_wait_alu 0xfffe
	s_delay_alu instid0(VALU_DEP_1) | instskip(SKIP_1) | instid1(VALU_DEP_2)
	v_add_co_u32 v6, s0, s0, v4
	s_wait_alu 0xf1ff
	v_add_co_ci_u32_e64 v7, s0, s1, v5, s0
	s_mov_b32 s1, exec_lo
	global_load_b128 v[13:16], v[6:7], off offset:768
	ds_store_b64 v52, v[8:9] offset:8
	ds_store_b128 v12, v[0:3] offset:3840
	ds_load_b128 v[0:3], v52 offset:768
	ds_load_b128 v[8:11], v12 offset:3072
	s_wait_dscnt 0x0
	v_add_f64_e64 v[17:18], v[0:1], -v[8:9]
	v_add_f64_e32 v[19:20], v[2:3], v[10:11]
	v_add_f64_e64 v[2:3], v[2:3], -v[10:11]
	v_add_f64_e32 v[0:1], v[0:1], v[8:9]
	s_delay_alu instid0(VALU_DEP_4) | instskip(NEXT) | instid1(VALU_DEP_4)
	v_mul_f64_e32 v[10:11], 0.5, v[17:18]
	v_mul_f64_e32 v[17:18], 0.5, v[19:20]
	s_delay_alu instid0(VALU_DEP_4) | instskip(SKIP_1) | instid1(VALU_DEP_3)
	v_mul_f64_e32 v[2:3], 0.5, v[2:3]
	s_wait_loadcnt 0x0
	v_mul_f64_e32 v[8:9], v[10:11], v[15:16]
	s_delay_alu instid0(VALU_DEP_2) | instskip(SKIP_1) | instid1(VALU_DEP_3)
	v_fma_f64 v[19:20], v[17:18], v[15:16], v[2:3]
	v_fma_f64 v[15:16], v[17:18], v[15:16], -v[2:3]
	v_fma_f64 v[21:22], v[0:1], 0.5, v[8:9]
	v_fma_f64 v[8:9], v[0:1], 0.5, -v[8:9]
	s_delay_alu instid0(VALU_DEP_4) | instskip(NEXT) | instid1(VALU_DEP_4)
	v_fma_f64 v[2:3], -v[13:14], v[10:11], v[19:20]
	v_fma_f64 v[10:11], -v[13:14], v[10:11], v[15:16]
	s_delay_alu instid0(VALU_DEP_4) | instskip(NEXT) | instid1(VALU_DEP_4)
	v_fma_f64 v[0:1], v[17:18], v[13:14], v[21:22]
	v_fma_f64 v[8:9], -v[17:18], v[13:14], v[8:9]
	ds_store_b128 v52, v[0:3] offset:768
	ds_store_b128 v12, v[8:11] offset:3072
	v_cmpx_gt_u32_e32 24, v24
	s_cbranch_execz .LBB0_23
; %bb.22:
	global_load_b128 v[0:3], v[6:7], off offset:1536
	ds_load_b128 v[6:9], v52 offset:1536
	ds_load_b128 v[13:16], v12 offset:2304
	s_wait_dscnt 0x0
	v_add_f64_e64 v[10:11], v[6:7], -v[13:14]
	v_add_f64_e32 v[17:18], v[8:9], v[15:16]
	v_add_f64_e64 v[8:9], v[8:9], -v[15:16]
	v_add_f64_e32 v[6:7], v[6:7], v[13:14]
	s_delay_alu instid0(VALU_DEP_4) | instskip(NEXT) | instid1(VALU_DEP_4)
	v_mul_f64_e32 v[10:11], 0.5, v[10:11]
	v_mul_f64_e32 v[15:16], 0.5, v[17:18]
	s_delay_alu instid0(VALU_DEP_4) | instskip(SKIP_1) | instid1(VALU_DEP_3)
	v_mul_f64_e32 v[8:9], 0.5, v[8:9]
	s_wait_loadcnt 0x0
	v_mul_f64_e32 v[13:14], v[10:11], v[2:3]
	s_delay_alu instid0(VALU_DEP_2) | instskip(SKIP_1) | instid1(VALU_DEP_3)
	v_fma_f64 v[17:18], v[15:16], v[2:3], v[8:9]
	v_fma_f64 v[2:3], v[15:16], v[2:3], -v[8:9]
	v_fma_f64 v[19:20], v[6:7], 0.5, v[13:14]
	v_fma_f64 v[13:14], v[6:7], 0.5, -v[13:14]
	s_delay_alu instid0(VALU_DEP_4) | instskip(NEXT) | instid1(VALU_DEP_4)
	v_fma_f64 v[8:9], -v[0:1], v[10:11], v[17:18]
	v_fma_f64 v[2:3], -v[0:1], v[10:11], v[2:3]
	s_delay_alu instid0(VALU_DEP_4) | instskip(NEXT) | instid1(VALU_DEP_4)
	v_fma_f64 v[6:7], v[15:16], v[0:1], v[19:20]
	v_fma_f64 v[0:1], -v[15:16], v[0:1], v[13:14]
	ds_store_b128 v52, v[6:9] offset:1536
	ds_store_b128 v12, v[0:3] offset:2304
.LBB0_23:
	s_wait_alu 0xfffe
	s_or_b32 exec_lo, exec_lo, s1
	global_wb scope:SCOPE_SE
	s_wait_dscnt 0x0
	s_barrier_signal -1
	s_barrier_wait -1
	global_inv scope:SCOPE_SE
	s_and_saveexec_b32 s0, vcc_lo
	s_cbranch_execz .LBB0_26
; %bb.24:
	ds_load_b128 v[6:9], v52
	ds_load_b128 v[10:13], v52 offset:768
	ds_load_b128 v[14:17], v52 offset:1536
	;; [unrolled: 1-line block ×4, first 2 shown]
	v_add_co_u32 v0, vcc_lo, s8, v26
	s_wait_alu 0xfffd
	v_add_co_ci_u32_e32 v1, vcc_lo, s9, v27, vcc_lo
	s_delay_alu instid0(VALU_DEP_2) | instskip(SKIP_1) | instid1(VALU_DEP_2)
	v_add_co_u32 v2, vcc_lo, v0, v4
	s_wait_alu 0xfffd
	v_add_co_ci_u32_e32 v3, vcc_lo, v1, v5, vcc_lo
	v_cmp_eq_u32_e32 vcc_lo, 47, v24
	s_wait_dscnt 0x4
	global_store_b128 v[2:3], v[6:9], off
	s_wait_dscnt 0x3
	global_store_b128 v[2:3], v[10:13], off offset:768
	s_wait_dscnt 0x2
	global_store_b128 v[2:3], v[14:17], off offset:1536
	;; [unrolled: 2-line block ×4, first 2 shown]
	s_and_b32 exec_lo, exec_lo, vcc_lo
	s_cbranch_execz .LBB0_26
; %bb.25:
	ds_load_b128 v[2:5], v52 offset:3088
	s_wait_dscnt 0x0
	global_store_b128 v[0:1], v[2:5], off offset:3840
.LBB0_26:
	s_nop 0
	s_sendmsg sendmsg(MSG_DEALLOC_VGPRS)
	s_endpgm
	.section	.rodata,"a",@progbits
	.p2align	6, 0x0
	.amdhsa_kernel fft_rtc_back_len240_factors_8_5_6_wgs_96_tpt_48_halfLds_dp_ip_CI_unitstride_sbrr_R2C_dirReg
		.amdhsa_group_segment_fixed_size 0
		.amdhsa_private_segment_fixed_size 0
		.amdhsa_kernarg_size 88
		.amdhsa_user_sgpr_count 2
		.amdhsa_user_sgpr_dispatch_ptr 0
		.amdhsa_user_sgpr_queue_ptr 0
		.amdhsa_user_sgpr_kernarg_segment_ptr 1
		.amdhsa_user_sgpr_dispatch_id 0
		.amdhsa_user_sgpr_private_segment_size 0
		.amdhsa_wavefront_size32 1
		.amdhsa_uses_dynamic_stack 0
		.amdhsa_enable_private_segment 0
		.amdhsa_system_sgpr_workgroup_id_x 1
		.amdhsa_system_sgpr_workgroup_id_y 0
		.amdhsa_system_sgpr_workgroup_id_z 0
		.amdhsa_system_sgpr_workgroup_info 0
		.amdhsa_system_vgpr_workitem_id 0
		.amdhsa_next_free_vgpr 65
		.amdhsa_next_free_sgpr 32
		.amdhsa_reserve_vcc 1
		.amdhsa_float_round_mode_32 0
		.amdhsa_float_round_mode_16_64 0
		.amdhsa_float_denorm_mode_32 3
		.amdhsa_float_denorm_mode_16_64 3
		.amdhsa_fp16_overflow 0
		.amdhsa_workgroup_processor_mode 1
		.amdhsa_memory_ordered 1
		.amdhsa_forward_progress 0
		.amdhsa_round_robin_scheduling 0
		.amdhsa_exception_fp_ieee_invalid_op 0
		.amdhsa_exception_fp_denorm_src 0
		.amdhsa_exception_fp_ieee_div_zero 0
		.amdhsa_exception_fp_ieee_overflow 0
		.amdhsa_exception_fp_ieee_underflow 0
		.amdhsa_exception_fp_ieee_inexact 0
		.amdhsa_exception_int_div_zero 0
	.end_amdhsa_kernel
	.text
.Lfunc_end0:
	.size	fft_rtc_back_len240_factors_8_5_6_wgs_96_tpt_48_halfLds_dp_ip_CI_unitstride_sbrr_R2C_dirReg, .Lfunc_end0-fft_rtc_back_len240_factors_8_5_6_wgs_96_tpt_48_halfLds_dp_ip_CI_unitstride_sbrr_R2C_dirReg
                                        ; -- End function
	.section	.AMDGPU.csdata,"",@progbits
; Kernel info:
; codeLenInByte = 4904
; NumSgprs: 34
; NumVgprs: 65
; ScratchSize: 0
; MemoryBound: 0
; FloatMode: 240
; IeeeMode: 1
; LDSByteSize: 0 bytes/workgroup (compile time only)
; SGPRBlocks: 4
; VGPRBlocks: 8
; NumSGPRsForWavesPerEU: 34
; NumVGPRsForWavesPerEU: 65
; Occupancy: 16
; WaveLimiterHint : 1
; COMPUTE_PGM_RSRC2:SCRATCH_EN: 0
; COMPUTE_PGM_RSRC2:USER_SGPR: 2
; COMPUTE_PGM_RSRC2:TRAP_HANDLER: 0
; COMPUTE_PGM_RSRC2:TGID_X_EN: 1
; COMPUTE_PGM_RSRC2:TGID_Y_EN: 0
; COMPUTE_PGM_RSRC2:TGID_Z_EN: 0
; COMPUTE_PGM_RSRC2:TIDIG_COMP_CNT: 0
	.text
	.p2alignl 7, 3214868480
	.fill 96, 4, 3214868480
	.type	__hip_cuid_ac84f2c95854733b,@object ; @__hip_cuid_ac84f2c95854733b
	.section	.bss,"aw",@nobits
	.globl	__hip_cuid_ac84f2c95854733b
__hip_cuid_ac84f2c95854733b:
	.byte	0                               ; 0x0
	.size	__hip_cuid_ac84f2c95854733b, 1

	.ident	"AMD clang version 19.0.0git (https://github.com/RadeonOpenCompute/llvm-project roc-6.4.0 25133 c7fe45cf4b819c5991fe208aaa96edf142730f1d)"
	.section	".note.GNU-stack","",@progbits
	.addrsig
	.addrsig_sym __hip_cuid_ac84f2c95854733b
	.amdgpu_metadata
---
amdhsa.kernels:
  - .args:
      - .actual_access:  read_only
        .address_space:  global
        .offset:         0
        .size:           8
        .value_kind:     global_buffer
      - .offset:         8
        .size:           8
        .value_kind:     by_value
      - .actual_access:  read_only
        .address_space:  global
        .offset:         16
        .size:           8
        .value_kind:     global_buffer
      - .actual_access:  read_only
        .address_space:  global
        .offset:         24
        .size:           8
        .value_kind:     global_buffer
      - .offset:         32
        .size:           8
        .value_kind:     by_value
      - .actual_access:  read_only
        .address_space:  global
        .offset:         40
        .size:           8
        .value_kind:     global_buffer
      - .actual_access:  read_only
        .address_space:  global
        .offset:         48
        .size:           8
        .value_kind:     global_buffer
      - .offset:         56
        .size:           4
        .value_kind:     by_value
      - .actual_access:  read_only
        .address_space:  global
        .offset:         64
        .size:           8
        .value_kind:     global_buffer
      - .actual_access:  read_only
        .address_space:  global
        .offset:         72
        .size:           8
        .value_kind:     global_buffer
      - .address_space:  global
        .offset:         80
        .size:           8
        .value_kind:     global_buffer
    .group_segment_fixed_size: 0
    .kernarg_segment_align: 8
    .kernarg_segment_size: 88
    .language:       OpenCL C
    .language_version:
      - 2
      - 0
    .max_flat_workgroup_size: 96
    .name:           fft_rtc_back_len240_factors_8_5_6_wgs_96_tpt_48_halfLds_dp_ip_CI_unitstride_sbrr_R2C_dirReg
    .private_segment_fixed_size: 0
    .sgpr_count:     34
    .sgpr_spill_count: 0
    .symbol:         fft_rtc_back_len240_factors_8_5_6_wgs_96_tpt_48_halfLds_dp_ip_CI_unitstride_sbrr_R2C_dirReg.kd
    .uniform_work_group_size: 1
    .uses_dynamic_stack: false
    .vgpr_count:     65
    .vgpr_spill_count: 0
    .wavefront_size: 32
    .workgroup_processor_mode: 1
amdhsa.target:   amdgcn-amd-amdhsa--gfx1201
amdhsa.version:
  - 1
  - 2
...

	.end_amdgpu_metadata
